;; amdgpu-corpus repo=zjin-lcf/HeCBench kind=compiled arch=gfx906 opt=O3
	.amdgcn_target "amdgcn-amd-amdhsa--gfx906"
	.amdhsa_code_object_version 6
	.section	.text._Z12cross_kernelIfiEviPT_PKS0_S3_T0_S4_S4_,"axG",@progbits,_Z12cross_kernelIfiEviPT_PKS0_S3_T0_S4_S4_,comdat
	.protected	_Z12cross_kernelIfiEviPT_PKS0_S3_T0_S4_S4_ ; -- Begin function _Z12cross_kernelIfiEviPT_PKS0_S3_T0_S4_S4_
	.globl	_Z12cross_kernelIfiEviPT_PKS0_S3_T0_S4_S4_
	.p2align	8
	.type	_Z12cross_kernelIfiEviPT_PKS0_S3_T0_S4_S4_,@function
_Z12cross_kernelIfiEviPT_PKS0_S3_T0_S4_S4_: ; @_Z12cross_kernelIfiEviPT_PKS0_S3_T0_S4_S4_
; %bb.0:
	s_load_dword s0, s[4:5], 0x3c
	s_load_dword s14, s[4:5], 0x0
	s_add_u32 s8, s4, 48
	s_addc_u32 s9, s5, 0
	s_waitcnt lgkmcnt(0)
	s_and_b32 s10, s0, 0xffff
	s_mul_i32 s6, s6, s10
	v_add_u32_e32 v2, s6, v0
	v_cmp_gt_i32_e32 vcc, s14, v2
	s_and_saveexec_b64 s[0:1], vcc
	s_cbranch_execz .LBB0_3
; %bb.1:
	s_load_dwordx4 s[20:23], s[4:5], 0x20
	s_load_dwordx4 s[0:3], s[4:5], 0x8
	s_load_dwordx2 s[6:7], s[4:5], 0x18
	s_load_dword s15, s[8:9], 0x0
	s_mov_b64 s[8:9], 0
	s_waitcnt lgkmcnt(0)
	s_ashr_i32 s5, s21, 31
	s_mov_b32 s4, s21
	s_lshl_b32 s12, s22, 1
	s_ashr_i32 s23, s22, 31
	s_ashr_i32 s13, s12, 31
	;; [unrolled: 1-line block ×3, first 2 shown]
	s_mul_i32 s15, s15, s10
	s_lshl_b64 s[4:5], s[4:5], 2
	s_lshl_b64 s[10:11], s[22:23], 2
	s_sub_u32 s16, 0, s10
	s_subb_u32 s18, 0, s11
	s_lshl_b64 s[10:11], s[20:21], 2
	s_lshl_b64 s[12:13], s[12:13], 2
	v_lshl_add_u32 v0, v2, 1, v2
	s_mul_i32 s17, s15, 3
	v_mov_b32_e32 v3, s1
	v_mov_b32_e32 v4, s3
	;; [unrolled: 1-line block ×7, first 2 shown]
.LBB0_2:                                ; =>This Inner Loop Header: Depth=1
	v_ashrrev_i32_e32 v1, 31, v0
	v_lshlrev_b64 v[10:11], 2, v[0:1]
	v_add_u32_e32 v2, s15, v2
	v_add_co_u32_e32 v12, vcc, s2, v10
	v_addc_co_u32_e32 v13, vcc, v4, v11, vcc
	v_add_co_u32_e32 v14, vcc, s6, v10
	v_addc_co_u32_e32 v15, vcc, v5, v11, vcc
	;; [unrolled: 2-line block ×4, first 2 shown]
	global_load_dword v1, v[16:17], off
	v_add_co_u32_e32 v16, vcc, s12, v14
	v_addc_co_u32_e32 v17, vcc, v15, v7, vcc
	v_add_co_u32_e32 v20, vcc, s16, v16
	v_addc_co_u32_e32 v21, vcc, v17, v8, vcc
	global_load_dword v22, v[16:17], off
	global_load_dword v23, v[12:13], off
                                        ; kill: killed $vgpr12 killed $vgpr13
                                        ; kill: killed $vgpr16 killed $vgpr17
	s_nop 0
	global_load_dword v12, v[14:15], off
	global_load_dword v16, v[18:19], off
	;; [unrolled: 1-line block ×3, first 2 shown]
	v_cmp_le_i32_e32 vcc, s14, v2
	s_or_b64 s[8:9], vcc, s[8:9]
	v_add_co_u32_e32 v10, vcc, s0, v10
	v_addc_co_u32_e32 v11, vcc, v3, v11, vcc
	v_add_u32_e32 v0, s17, v0
	s_waitcnt vmcnt(3)
	v_mul_f32_e32 v13, v22, v23
	s_waitcnt vmcnt(2)
	v_mul_f32_e32 v14, v1, v12
	s_waitcnt vmcnt(1)
	v_fma_f32 v18, v16, v12, -v13
	v_add_co_u32_e32 v12, vcc, s10, v10
	s_waitcnt vmcnt(0)
	v_fma_f32 v19, v17, v23, -v14
	v_addc_co_u32_e32 v13, vcc, v11, v9, vcc
	v_mul_f32_e32 v14, v16, v17
	v_fma_f32 v1, v1, v22, -v14
	v_add_co_u32_e32 v14, vcc, s10, v12
	v_addc_co_u32_e32 v15, vcc, v13, v9, vcc
	global_store_dword v[10:11], v1, off
	global_store_dword v[12:13], v18, off
	;; [unrolled: 1-line block ×3, first 2 shown]
	s_andn2_b64 exec, exec, s[8:9]
	s_cbranch_execnz .LBB0_2
.LBB0_3:
	s_endpgm
	.section	.rodata,"a",@progbits
	.p2align	6, 0x0
	.amdhsa_kernel _Z12cross_kernelIfiEviPT_PKS0_S3_T0_S4_S4_
		.amdhsa_group_segment_fixed_size 0
		.amdhsa_private_segment_fixed_size 0
		.amdhsa_kernarg_size 304
		.amdhsa_user_sgpr_count 6
		.amdhsa_user_sgpr_private_segment_buffer 1
		.amdhsa_user_sgpr_dispatch_ptr 0
		.amdhsa_user_sgpr_queue_ptr 0
		.amdhsa_user_sgpr_kernarg_segment_ptr 1
		.amdhsa_user_sgpr_dispatch_id 0
		.amdhsa_user_sgpr_flat_scratch_init 0
		.amdhsa_user_sgpr_private_segment_size 0
		.amdhsa_uses_dynamic_stack 0
		.amdhsa_system_sgpr_private_segment_wavefront_offset 0
		.amdhsa_system_sgpr_workgroup_id_x 1
		.amdhsa_system_sgpr_workgroup_id_y 0
		.amdhsa_system_sgpr_workgroup_id_z 0
		.amdhsa_system_sgpr_workgroup_info 0
		.amdhsa_system_vgpr_workitem_id 0
		.amdhsa_next_free_vgpr 24
		.amdhsa_next_free_sgpr 24
		.amdhsa_reserve_vcc 1
		.amdhsa_reserve_flat_scratch 0
		.amdhsa_float_round_mode_32 0
		.amdhsa_float_round_mode_16_64 0
		.amdhsa_float_denorm_mode_32 3
		.amdhsa_float_denorm_mode_16_64 3
		.amdhsa_dx10_clamp 1
		.amdhsa_ieee_mode 1
		.amdhsa_fp16_overflow 0
		.amdhsa_exception_fp_ieee_invalid_op 0
		.amdhsa_exception_fp_denorm_src 0
		.amdhsa_exception_fp_ieee_div_zero 0
		.amdhsa_exception_fp_ieee_overflow 0
		.amdhsa_exception_fp_ieee_underflow 0
		.amdhsa_exception_fp_ieee_inexact 0
		.amdhsa_exception_int_div_zero 0
	.end_amdhsa_kernel
	.section	.text._Z12cross_kernelIfiEviPT_PKS0_S3_T0_S4_S4_,"axG",@progbits,_Z12cross_kernelIfiEviPT_PKS0_S3_T0_S4_S4_,comdat
.Lfunc_end0:
	.size	_Z12cross_kernelIfiEviPT_PKS0_S3_T0_S4_S4_, .Lfunc_end0-_Z12cross_kernelIfiEviPT_PKS0_S3_T0_S4_S4_
                                        ; -- End function
	.set _Z12cross_kernelIfiEviPT_PKS0_S3_T0_S4_S4_.num_vgpr, 24
	.set _Z12cross_kernelIfiEviPT_PKS0_S3_T0_S4_S4_.num_agpr, 0
	.set _Z12cross_kernelIfiEviPT_PKS0_S3_T0_S4_S4_.numbered_sgpr, 24
	.set _Z12cross_kernelIfiEviPT_PKS0_S3_T0_S4_S4_.num_named_barrier, 0
	.set _Z12cross_kernelIfiEviPT_PKS0_S3_T0_S4_S4_.private_seg_size, 0
	.set _Z12cross_kernelIfiEviPT_PKS0_S3_T0_S4_S4_.uses_vcc, 1
	.set _Z12cross_kernelIfiEviPT_PKS0_S3_T0_S4_S4_.uses_flat_scratch, 0
	.set _Z12cross_kernelIfiEviPT_PKS0_S3_T0_S4_S4_.has_dyn_sized_stack, 0
	.set _Z12cross_kernelIfiEviPT_PKS0_S3_T0_S4_S4_.has_recursion, 0
	.set _Z12cross_kernelIfiEviPT_PKS0_S3_T0_S4_S4_.has_indirect_call, 0
	.section	.AMDGPU.csdata,"",@progbits
; Kernel info:
; codeLenInByte = 428
; TotalNumSgprs: 28
; NumVgprs: 24
; ScratchSize: 0
; MemoryBound: 0
; FloatMode: 240
; IeeeMode: 1
; LDSByteSize: 0 bytes/workgroup (compile time only)
; SGPRBlocks: 3
; VGPRBlocks: 5
; NumSGPRsForWavesPerEU: 28
; NumVGPRsForWavesPerEU: 24
; Occupancy: 10
; WaveLimiterHint : 0
; COMPUTE_PGM_RSRC2:SCRATCH_EN: 0
; COMPUTE_PGM_RSRC2:USER_SGPR: 6
; COMPUTE_PGM_RSRC2:TRAP_HANDLER: 0
; COMPUTE_PGM_RSRC2:TGID_X_EN: 1
; COMPUTE_PGM_RSRC2:TGID_Y_EN: 0
; COMPUTE_PGM_RSRC2:TGID_Z_EN: 0
; COMPUTE_PGM_RSRC2:TIDIG_COMP_CNT: 0
	.section	.text._Z13cross2_kernelIfiEviPT_PKS0_S3_T0_S4_S4_,"axG",@progbits,_Z13cross2_kernelIfiEviPT_PKS0_S3_T0_S4_S4_,comdat
	.protected	_Z13cross2_kernelIfiEviPT_PKS0_S3_T0_S4_S4_ ; -- Begin function _Z13cross2_kernelIfiEviPT_PKS0_S3_T0_S4_S4_
	.globl	_Z13cross2_kernelIfiEviPT_PKS0_S3_T0_S4_S4_
	.p2align	8
	.type	_Z13cross2_kernelIfiEviPT_PKS0_S3_T0_S4_S4_,@function
_Z13cross2_kernelIfiEviPT_PKS0_S3_T0_S4_S4_: ; @_Z13cross2_kernelIfiEviPT_PKS0_S3_T0_S4_S4_
; %bb.0:
	s_load_dword s0, s[4:5], 0x3c
	s_load_dword s14, s[4:5], 0x0
	s_add_u32 s8, s4, 48
	s_addc_u32 s9, s5, 0
	s_waitcnt lgkmcnt(0)
	s_and_b32 s10, s0, 0xffff
	s_mul_i32 s6, s6, s10
	v_add_u32_e32 v2, s6, v0
	v_cmp_gt_i32_e32 vcc, s14, v2
	s_and_saveexec_b64 s[0:1], vcc
	s_cbranch_execz .LBB1_3
; %bb.1:
	s_load_dwordx4 s[16:19], s[4:5], 0x20
	s_load_dwordx4 s[0:3], s[4:5], 0x8
	s_load_dwordx2 s[6:7], s[4:5], 0x18
	s_load_dword s15, s[8:9], 0x0
	v_lshl_add_u32 v0, v2, 1, v2
	s_waitcnt lgkmcnt(0)
	s_ashr_i32 s5, s17, 31
	s_mov_b32 s4, s17
	s_ashr_i32 s19, s18, 31
	s_ashr_i32 s17, s16, 31
	s_mul_i32 s15, s15, s10
	s_lshl_b64 s[4:5], s[4:5], 2
	s_lshl_b64 s[8:9], s[18:19], 2
	s_lshl_b64 s[10:11], s[16:17], 2
	s_mul_i32 s16, s15, 3
	s_mov_b64 s[12:13], 0
	v_mov_b32_e32 v3, s1
	v_mov_b32_e32 v4, s3
	;; [unrolled: 1-line block ×6, first 2 shown]
.LBB1_2:                                ; =>This Inner Loop Header: Depth=1
	v_ashrrev_i32_e32 v1, 31, v0
	v_lshlrev_b64 v[9:10], 2, v[0:1]
	v_add_u32_e32 v2, s15, v2
	v_add_co_u32_e32 v11, vcc, s2, v9
	v_addc_co_u32_e32 v12, vcc, v4, v10, vcc
	v_add_co_u32_e32 v13, vcc, s6, v9
	v_addc_co_u32_e32 v14, vcc, v5, v10, vcc
	global_load_dword v1, v[11:12], off
	v_add_co_u32_e32 v11, vcc, s4, v11
	v_addc_co_u32_e32 v12, vcc, v12, v6, vcc
	v_add_co_u32_e32 v15, vcc, s4, v11
	v_addc_co_u32_e32 v16, vcc, v12, v6, vcc
	global_load_dword v17, v[11:12], off
	global_load_dword v18, v[15:16], off
	;; [unrolled: 1-line block ×3, first 2 shown]
	v_add_co_u32_e32 v11, vcc, s8, v13
	v_addc_co_u32_e32 v12, vcc, v14, v7, vcc
	global_load_dword v13, v[11:12], off
	v_add_co_u32_e32 v11, vcc, s8, v11
	v_addc_co_u32_e32 v12, vcc, v12, v7, vcc
	global_load_dword v14, v[11:12], off
	v_cmp_le_i32_e32 vcc, s14, v2
	s_or_b64 s[12:13], vcc, s[12:13]
	v_add_co_u32_e32 v9, vcc, s0, v9
	v_addc_co_u32_e32 v10, vcc, v3, v10, vcc
	v_add_co_u32_e32 v11, vcc, s10, v9
	v_addc_co_u32_e32 v12, vcc, v10, v8, vcc
	v_add_u32_e32 v0, s16, v0
	s_waitcnt vmcnt(2)
	v_mul_f32_e32 v15, v17, v19
	s_waitcnt vmcnt(1)
	v_fma_f32 v15, v1, v13, -v15
	v_mul_f32_e32 v13, v18, v13
	s_waitcnt vmcnt(0)
	v_mul_f32_e32 v1, v1, v14
	v_fma_f32 v16, v17, v14, -v13
	v_add_co_u32_e32 v13, vcc, s10, v11
	v_addc_co_u32_e32 v14, vcc, v12, v8, vcc
	v_fma_f32 v1, v18, v19, -v1
	global_store_dword v[9:10], v16, off
	global_store_dword v[11:12], v1, off
	;; [unrolled: 1-line block ×3, first 2 shown]
	s_andn2_b64 exec, exec, s[12:13]
	s_cbranch_execnz .LBB1_2
.LBB1_3:
	s_endpgm
	.section	.rodata,"a",@progbits
	.p2align	6, 0x0
	.amdhsa_kernel _Z13cross2_kernelIfiEviPT_PKS0_S3_T0_S4_S4_
		.amdhsa_group_segment_fixed_size 0
		.amdhsa_private_segment_fixed_size 0
		.amdhsa_kernarg_size 304
		.amdhsa_user_sgpr_count 6
		.amdhsa_user_sgpr_private_segment_buffer 1
		.amdhsa_user_sgpr_dispatch_ptr 0
		.amdhsa_user_sgpr_queue_ptr 0
		.amdhsa_user_sgpr_kernarg_segment_ptr 1
		.amdhsa_user_sgpr_dispatch_id 0
		.amdhsa_user_sgpr_flat_scratch_init 0
		.amdhsa_user_sgpr_private_segment_size 0
		.amdhsa_uses_dynamic_stack 0
		.amdhsa_system_sgpr_private_segment_wavefront_offset 0
		.amdhsa_system_sgpr_workgroup_id_x 1
		.amdhsa_system_sgpr_workgroup_id_y 0
		.amdhsa_system_sgpr_workgroup_id_z 0
		.amdhsa_system_sgpr_workgroup_info 0
		.amdhsa_system_vgpr_workitem_id 0
		.amdhsa_next_free_vgpr 20
		.amdhsa_next_free_sgpr 20
		.amdhsa_reserve_vcc 1
		.amdhsa_reserve_flat_scratch 0
		.amdhsa_float_round_mode_32 0
		.amdhsa_float_round_mode_16_64 0
		.amdhsa_float_denorm_mode_32 3
		.amdhsa_float_denorm_mode_16_64 3
		.amdhsa_dx10_clamp 1
		.amdhsa_ieee_mode 1
		.amdhsa_fp16_overflow 0
		.amdhsa_exception_fp_ieee_invalid_op 0
		.amdhsa_exception_fp_denorm_src 0
		.amdhsa_exception_fp_ieee_div_zero 0
		.amdhsa_exception_fp_ieee_overflow 0
		.amdhsa_exception_fp_ieee_underflow 0
		.amdhsa_exception_fp_ieee_inexact 0
		.amdhsa_exception_int_div_zero 0
	.end_amdhsa_kernel
	.section	.text._Z13cross2_kernelIfiEviPT_PKS0_S3_T0_S4_S4_,"axG",@progbits,_Z13cross2_kernelIfiEviPT_PKS0_S3_T0_S4_S4_,comdat
.Lfunc_end1:
	.size	_Z13cross2_kernelIfiEviPT_PKS0_S3_T0_S4_S4_, .Lfunc_end1-_Z13cross2_kernelIfiEviPT_PKS0_S3_T0_S4_S4_
                                        ; -- End function
	.set _Z13cross2_kernelIfiEviPT_PKS0_S3_T0_S4_S4_.num_vgpr, 20
	.set _Z13cross2_kernelIfiEviPT_PKS0_S3_T0_S4_S4_.num_agpr, 0
	.set _Z13cross2_kernelIfiEviPT_PKS0_S3_T0_S4_S4_.numbered_sgpr, 20
	.set _Z13cross2_kernelIfiEviPT_PKS0_S3_T0_S4_S4_.num_named_barrier, 0
	.set _Z13cross2_kernelIfiEviPT_PKS0_S3_T0_S4_S4_.private_seg_size, 0
	.set _Z13cross2_kernelIfiEviPT_PKS0_S3_T0_S4_S4_.uses_vcc, 1
	.set _Z13cross2_kernelIfiEviPT_PKS0_S3_T0_S4_S4_.uses_flat_scratch, 0
	.set _Z13cross2_kernelIfiEviPT_PKS0_S3_T0_S4_S4_.has_dyn_sized_stack, 0
	.set _Z13cross2_kernelIfiEviPT_PKS0_S3_T0_S4_S4_.has_recursion, 0
	.set _Z13cross2_kernelIfiEviPT_PKS0_S3_T0_S4_S4_.has_indirect_call, 0
	.section	.AMDGPU.csdata,"",@progbits
; Kernel info:
; codeLenInByte = 396
; TotalNumSgprs: 24
; NumVgprs: 20
; ScratchSize: 0
; MemoryBound: 0
; FloatMode: 240
; IeeeMode: 1
; LDSByteSize: 0 bytes/workgroup (compile time only)
; SGPRBlocks: 2
; VGPRBlocks: 4
; NumSGPRsForWavesPerEU: 24
; NumVGPRsForWavesPerEU: 20
; Occupancy: 10
; WaveLimiterHint : 0
; COMPUTE_PGM_RSRC2:SCRATCH_EN: 0
; COMPUTE_PGM_RSRC2:USER_SGPR: 6
; COMPUTE_PGM_RSRC2:TRAP_HANDLER: 0
; COMPUTE_PGM_RSRC2:TGID_X_EN: 1
; COMPUTE_PGM_RSRC2:TGID_Y_EN: 0
; COMPUTE_PGM_RSRC2:TGID_Z_EN: 0
; COMPUTE_PGM_RSRC2:TIDIG_COMP_CNT: 0
	.section	.text._Z13cross3_kernelIfEviPT_PKS0_S3_,"axG",@progbits,_Z13cross3_kernelIfEviPT_PKS0_S3_,comdat
	.protected	_Z13cross3_kernelIfEviPT_PKS0_S3_ ; -- Begin function _Z13cross3_kernelIfEviPT_PKS0_S3_
	.globl	_Z13cross3_kernelIfEviPT_PKS0_S3_
	.p2align	8
	.type	_Z13cross3_kernelIfEviPT_PKS0_S3_,@function
_Z13cross3_kernelIfEviPT_PKS0_S3_:      ; @_Z13cross3_kernelIfEviPT_PKS0_S3_
; %bb.0:
	s_load_dword s0, s[4:5], 0x2c
	s_load_dword s10, s[4:5], 0x0
	s_add_u32 s8, s4, 32
	s_addc_u32 s9, s5, 0
	s_waitcnt lgkmcnt(0)
	s_and_b32 s11, s0, 0xffff
	s_mul_i32 s6, s6, s11
	v_add_u32_e32 v2, s6, v0
	v_cmp_gt_i32_e32 vcc, s10, v2
	s_and_saveexec_b64 s[0:1], vcc
	s_cbranch_execz .LBB2_3
; %bb.1:
	s_load_dword s12, s[8:9], 0x0
	s_load_dwordx4 s[0:3], s[4:5], 0x8
	s_load_dwordx2 s[6:7], s[4:5], 0x18
	v_lshl_add_u32 v0, v2, 1, v2
	s_mov_b64 s[4:5], 0
	s_waitcnt lgkmcnt(0)
	s_mul_i32 s8, s12, s11
	s_mul_i32 s9, s8, 3
	v_mov_b32_e32 v3, s1
	v_mov_b32_e32 v4, s3
	;; [unrolled: 1-line block ×3, first 2 shown]
.LBB2_2:                                ; =>This Inner Loop Header: Depth=1
	v_ashrrev_i32_e32 v1, 31, v0
	v_lshlrev_b64 v[12:13], 2, v[0:1]
	v_add_u32_e32 v2, s8, v2
	v_add_co_u32_e32 v14, vcc, s2, v12
	v_addc_co_u32_e32 v15, vcc, v4, v13, vcc
	v_add_co_u32_e32 v16, vcc, s6, v12
	v_addc_co_u32_e32 v17, vcc, v5, v13, vcc
	global_load_dwordx3 v[6:8], v[14:15], off
	global_load_dwordx3 v[9:11], v[16:17], off
	v_cmp_le_i32_e32 vcc, s10, v2
	s_or_b64 s[4:5], vcc, s[4:5]
	v_add_co_u32_e32 v12, vcc, s0, v12
	v_addc_co_u32_e32 v13, vcc, v3, v13, vcc
	v_add_u32_e32 v0, s9, v0
	s_waitcnt vmcnt(0)
	v_mul_f32_e32 v1, v8, v10
	v_mul_f32_e32 v14, v6, v11
	;; [unrolled: 1-line block ×3, first 2 shown]
	v_fma_f32 v7, v7, v11, -v1
	v_fma_f32 v8, v8, v9, -v14
	;; [unrolled: 1-line block ×3, first 2 shown]
	global_store_dwordx3 v[12:13], v[7:9], off
	s_andn2_b64 exec, exec, s[4:5]
	s_cbranch_execnz .LBB2_2
.LBB2_3:
	s_endpgm
	.section	.rodata,"a",@progbits
	.p2align	6, 0x0
	.amdhsa_kernel _Z13cross3_kernelIfEviPT_PKS0_S3_
		.amdhsa_group_segment_fixed_size 0
		.amdhsa_private_segment_fixed_size 0
		.amdhsa_kernarg_size 288
		.amdhsa_user_sgpr_count 6
		.amdhsa_user_sgpr_private_segment_buffer 1
		.amdhsa_user_sgpr_dispatch_ptr 0
		.amdhsa_user_sgpr_queue_ptr 0
		.amdhsa_user_sgpr_kernarg_segment_ptr 1
		.amdhsa_user_sgpr_dispatch_id 0
		.amdhsa_user_sgpr_flat_scratch_init 0
		.amdhsa_user_sgpr_private_segment_size 0
		.amdhsa_uses_dynamic_stack 0
		.amdhsa_system_sgpr_private_segment_wavefront_offset 0
		.amdhsa_system_sgpr_workgroup_id_x 1
		.amdhsa_system_sgpr_workgroup_id_y 0
		.amdhsa_system_sgpr_workgroup_id_z 0
		.amdhsa_system_sgpr_workgroup_info 0
		.amdhsa_system_vgpr_workitem_id 0
		.amdhsa_next_free_vgpr 18
		.amdhsa_next_free_sgpr 13
		.amdhsa_reserve_vcc 1
		.amdhsa_reserve_flat_scratch 0
		.amdhsa_float_round_mode_32 0
		.amdhsa_float_round_mode_16_64 0
		.amdhsa_float_denorm_mode_32 3
		.amdhsa_float_denorm_mode_16_64 3
		.amdhsa_dx10_clamp 1
		.amdhsa_ieee_mode 1
		.amdhsa_fp16_overflow 0
		.amdhsa_exception_fp_ieee_invalid_op 0
		.amdhsa_exception_fp_denorm_src 0
		.amdhsa_exception_fp_ieee_div_zero 0
		.amdhsa_exception_fp_ieee_overflow 0
		.amdhsa_exception_fp_ieee_underflow 0
		.amdhsa_exception_fp_ieee_inexact 0
		.amdhsa_exception_int_div_zero 0
	.end_amdhsa_kernel
	.section	.text._Z13cross3_kernelIfEviPT_PKS0_S3_,"axG",@progbits,_Z13cross3_kernelIfEviPT_PKS0_S3_,comdat
.Lfunc_end2:
	.size	_Z13cross3_kernelIfEviPT_PKS0_S3_, .Lfunc_end2-_Z13cross3_kernelIfEviPT_PKS0_S3_
                                        ; -- End function
	.set _Z13cross3_kernelIfEviPT_PKS0_S3_.num_vgpr, 18
	.set _Z13cross3_kernelIfEviPT_PKS0_S3_.num_agpr, 0
	.set _Z13cross3_kernelIfEviPT_PKS0_S3_.numbered_sgpr, 13
	.set _Z13cross3_kernelIfEviPT_PKS0_S3_.num_named_barrier, 0
	.set _Z13cross3_kernelIfEviPT_PKS0_S3_.private_seg_size, 0
	.set _Z13cross3_kernelIfEviPT_PKS0_S3_.uses_vcc, 1
	.set _Z13cross3_kernelIfEviPT_PKS0_S3_.uses_flat_scratch, 0
	.set _Z13cross3_kernelIfEviPT_PKS0_S3_.has_dyn_sized_stack, 0
	.set _Z13cross3_kernelIfEviPT_PKS0_S3_.has_recursion, 0
	.set _Z13cross3_kernelIfEviPT_PKS0_S3_.has_indirect_call, 0
	.section	.AMDGPU.csdata,"",@progbits
; Kernel info:
; codeLenInByte = 244
; TotalNumSgprs: 17
; NumVgprs: 18
; ScratchSize: 0
; MemoryBound: 0
; FloatMode: 240
; IeeeMode: 1
; LDSByteSize: 0 bytes/workgroup (compile time only)
; SGPRBlocks: 2
; VGPRBlocks: 4
; NumSGPRsForWavesPerEU: 17
; NumVGPRsForWavesPerEU: 18
; Occupancy: 10
; WaveLimiterHint : 0
; COMPUTE_PGM_RSRC2:SCRATCH_EN: 0
; COMPUTE_PGM_RSRC2:USER_SGPR: 6
; COMPUTE_PGM_RSRC2:TRAP_HANDLER: 0
; COMPUTE_PGM_RSRC2:TGID_X_EN: 1
; COMPUTE_PGM_RSRC2:TGID_Y_EN: 0
; COMPUTE_PGM_RSRC2:TGID_Z_EN: 0
; COMPUTE_PGM_RSRC2:TIDIG_COMP_CNT: 0
	.section	.text._Z12cross_kernelIdiEviPT_PKS0_S3_T0_S4_S4_,"axG",@progbits,_Z12cross_kernelIdiEviPT_PKS0_S3_T0_S4_S4_,comdat
	.protected	_Z12cross_kernelIdiEviPT_PKS0_S3_T0_S4_S4_ ; -- Begin function _Z12cross_kernelIdiEviPT_PKS0_S3_T0_S4_S4_
	.globl	_Z12cross_kernelIdiEviPT_PKS0_S3_T0_S4_S4_
	.p2align	8
	.type	_Z12cross_kernelIdiEviPT_PKS0_S3_T0_S4_S4_,@function
_Z12cross_kernelIdiEviPT_PKS0_S3_T0_S4_S4_: ; @_Z12cross_kernelIdiEviPT_PKS0_S3_T0_S4_S4_
; %bb.0:
	s_load_dword s0, s[4:5], 0x3c
	s_load_dword s14, s[4:5], 0x0
	s_add_u32 s8, s4, 48
	s_addc_u32 s9, s5, 0
	s_waitcnt lgkmcnt(0)
	s_and_b32 s10, s0, 0xffff
	s_mul_i32 s6, s6, s10
	v_add_u32_e32 v2, s6, v0
	v_cmp_gt_i32_e32 vcc, s14, v2
	s_and_saveexec_b64 s[0:1], vcc
	s_cbranch_execz .LBB3_3
; %bb.1:
	s_load_dwordx4 s[20:23], s[4:5], 0x20
	s_load_dwordx4 s[0:3], s[4:5], 0x8
	s_load_dwordx2 s[6:7], s[4:5], 0x18
	s_load_dword s15, s[8:9], 0x0
	s_mov_b64 s[8:9], 0
	s_waitcnt lgkmcnt(0)
	s_ashr_i32 s5, s21, 31
	s_mov_b32 s4, s21
	s_lshl_b32 s12, s22, 1
	s_ashr_i32 s23, s22, 31
	s_ashr_i32 s13, s12, 31
	;; [unrolled: 1-line block ×3, first 2 shown]
	s_mul_i32 s15, s15, s10
	s_lshl_b64 s[4:5], s[4:5], 3
	s_lshl_b64 s[10:11], s[22:23], 3
	s_sub_u32 s16, 0, s10
	s_subb_u32 s18, 0, s11
	s_lshl_b64 s[10:11], s[20:21], 3
	s_lshl_b64 s[12:13], s[12:13], 3
	v_lshl_add_u32 v0, v2, 1, v2
	s_mul_i32 s17, s15, 3
	v_mov_b32_e32 v3, s1
	v_mov_b32_e32 v4, s3
	;; [unrolled: 1-line block ×7, first 2 shown]
.LBB3_2:                                ; =>This Inner Loop Header: Depth=1
	v_ashrrev_i32_e32 v1, 31, v0
	v_lshlrev_b64 v[10:11], 3, v[0:1]
	v_add_u32_e32 v2, s15, v2
	v_add_co_u32_e32 v12, vcc, s2, v10
	v_addc_co_u32_e32 v13, vcc, v4, v11, vcc
	v_add_co_u32_e32 v14, vcc, s6, v10
	v_addc_co_u32_e32 v15, vcc, v5, v11, vcc
	;; [unrolled: 2-line block ×4, first 2 shown]
	global_load_dwordx2 v[20:21], v[18:19], off
	global_load_dwordx2 v[22:23], v[12:13], off
	v_add_co_u32_e32 v12, vcc, s16, v18
	v_addc_co_u32_e32 v13, vcc, v19, v8, vcc
	v_add_co_u32_e32 v18, vcc, s4, v16
	v_addc_co_u32_e32 v19, vcc, v17, v6, vcc
	global_load_dwordx2 v[24:25], v[18:19], off
	global_load_dwordx2 v[26:27], v[14:15], off
                                        ; kill: killed $vgpr18 killed $vgpr19
                                        ; kill: killed $vgpr14 killed $vgpr15
	s_nop 0
	global_load_dwordx2 v[14:15], v[16:17], off
	global_load_dwordx2 v[18:19], v[12:13], off
	v_cmp_le_i32_e32 vcc, s14, v2
	s_or_b64 s[8:9], vcc, s[8:9]
	v_add_co_u32_e32 v10, vcc, s0, v10
	v_addc_co_u32_e32 v11, vcc, v3, v11, vcc
	v_add_u32_e32 v0, s17, v0
	s_waitcnt vmcnt(4)
	v_mul_f64 v[12:13], v[20:21], v[22:23]
	s_waitcnt vmcnt(1)
	v_mul_f64 v[16:17], v[14:15], v[26:27]
	v_fma_f64 v[12:13], v[24:25], v[26:27], -v[12:13]
	s_waitcnt vmcnt(0)
	v_fma_f64 v[16:17], v[18:19], v[22:23], -v[16:17]
	v_mul_f64 v[18:19], v[24:25], v[18:19]
	v_fma_f64 v[14:15], v[14:15], v[20:21], -v[18:19]
	v_add_co_u32_e32 v18, vcc, s10, v10
	v_addc_co_u32_e32 v19, vcc, v11, v9, vcc
	v_add_co_u32_e32 v20, vcc, s10, v18
	v_addc_co_u32_e32 v21, vcc, v19, v9, vcc
	global_store_dwordx2 v[10:11], v[14:15], off
	global_store_dwordx2 v[18:19], v[12:13], off
	;; [unrolled: 1-line block ×3, first 2 shown]
	s_andn2_b64 exec, exec, s[8:9]
	s_cbranch_execnz .LBB3_2
.LBB3_3:
	s_endpgm
	.section	.rodata,"a",@progbits
	.p2align	6, 0x0
	.amdhsa_kernel _Z12cross_kernelIdiEviPT_PKS0_S3_T0_S4_S4_
		.amdhsa_group_segment_fixed_size 0
		.amdhsa_private_segment_fixed_size 0
		.amdhsa_kernarg_size 304
		.amdhsa_user_sgpr_count 6
		.amdhsa_user_sgpr_private_segment_buffer 1
		.amdhsa_user_sgpr_dispatch_ptr 0
		.amdhsa_user_sgpr_queue_ptr 0
		.amdhsa_user_sgpr_kernarg_segment_ptr 1
		.amdhsa_user_sgpr_dispatch_id 0
		.amdhsa_user_sgpr_flat_scratch_init 0
		.amdhsa_user_sgpr_private_segment_size 0
		.amdhsa_uses_dynamic_stack 0
		.amdhsa_system_sgpr_private_segment_wavefront_offset 0
		.amdhsa_system_sgpr_workgroup_id_x 1
		.amdhsa_system_sgpr_workgroup_id_y 0
		.amdhsa_system_sgpr_workgroup_id_z 0
		.amdhsa_system_sgpr_workgroup_info 0
		.amdhsa_system_vgpr_workitem_id 0
		.amdhsa_next_free_vgpr 28
		.amdhsa_next_free_sgpr 24
		.amdhsa_reserve_vcc 1
		.amdhsa_reserve_flat_scratch 0
		.amdhsa_float_round_mode_32 0
		.amdhsa_float_round_mode_16_64 0
		.amdhsa_float_denorm_mode_32 3
		.amdhsa_float_denorm_mode_16_64 3
		.amdhsa_dx10_clamp 1
		.amdhsa_ieee_mode 1
		.amdhsa_fp16_overflow 0
		.amdhsa_exception_fp_ieee_invalid_op 0
		.amdhsa_exception_fp_denorm_src 0
		.amdhsa_exception_fp_ieee_div_zero 0
		.amdhsa_exception_fp_ieee_overflow 0
		.amdhsa_exception_fp_ieee_underflow 0
		.amdhsa_exception_fp_ieee_inexact 0
		.amdhsa_exception_int_div_zero 0
	.end_amdhsa_kernel
	.section	.text._Z12cross_kernelIdiEviPT_PKS0_S3_T0_S4_S4_,"axG",@progbits,_Z12cross_kernelIdiEviPT_PKS0_S3_T0_S4_S4_,comdat
.Lfunc_end3:
	.size	_Z12cross_kernelIdiEviPT_PKS0_S3_T0_S4_S4_, .Lfunc_end3-_Z12cross_kernelIdiEviPT_PKS0_S3_T0_S4_S4_
                                        ; -- End function
	.set _Z12cross_kernelIdiEviPT_PKS0_S3_T0_S4_S4_.num_vgpr, 28
	.set _Z12cross_kernelIdiEviPT_PKS0_S3_T0_S4_S4_.num_agpr, 0
	.set _Z12cross_kernelIdiEviPT_PKS0_S3_T0_S4_S4_.numbered_sgpr, 24
	.set _Z12cross_kernelIdiEviPT_PKS0_S3_T0_S4_S4_.num_named_barrier, 0
	.set _Z12cross_kernelIdiEviPT_PKS0_S3_T0_S4_S4_.private_seg_size, 0
	.set _Z12cross_kernelIdiEviPT_PKS0_S3_T0_S4_S4_.uses_vcc, 1
	.set _Z12cross_kernelIdiEviPT_PKS0_S3_T0_S4_S4_.uses_flat_scratch, 0
	.set _Z12cross_kernelIdiEviPT_PKS0_S3_T0_S4_S4_.has_dyn_sized_stack, 0
	.set _Z12cross_kernelIdiEviPT_PKS0_S3_T0_S4_S4_.has_recursion, 0
	.set _Z12cross_kernelIdiEviPT_PKS0_S3_T0_S4_S4_.has_indirect_call, 0
	.section	.AMDGPU.csdata,"",@progbits
; Kernel info:
; codeLenInByte = 436
; TotalNumSgprs: 28
; NumVgprs: 28
; ScratchSize: 0
; MemoryBound: 0
; FloatMode: 240
; IeeeMode: 1
; LDSByteSize: 0 bytes/workgroup (compile time only)
; SGPRBlocks: 3
; VGPRBlocks: 6
; NumSGPRsForWavesPerEU: 28
; NumVGPRsForWavesPerEU: 28
; Occupancy: 9
; WaveLimiterHint : 0
; COMPUTE_PGM_RSRC2:SCRATCH_EN: 0
; COMPUTE_PGM_RSRC2:USER_SGPR: 6
; COMPUTE_PGM_RSRC2:TRAP_HANDLER: 0
; COMPUTE_PGM_RSRC2:TGID_X_EN: 1
; COMPUTE_PGM_RSRC2:TGID_Y_EN: 0
; COMPUTE_PGM_RSRC2:TGID_Z_EN: 0
; COMPUTE_PGM_RSRC2:TIDIG_COMP_CNT: 0
	.section	.text._Z13cross2_kernelIdiEviPT_PKS0_S3_T0_S4_S4_,"axG",@progbits,_Z13cross2_kernelIdiEviPT_PKS0_S3_T0_S4_S4_,comdat
	.protected	_Z13cross2_kernelIdiEviPT_PKS0_S3_T0_S4_S4_ ; -- Begin function _Z13cross2_kernelIdiEviPT_PKS0_S3_T0_S4_S4_
	.globl	_Z13cross2_kernelIdiEviPT_PKS0_S3_T0_S4_S4_
	.p2align	8
	.type	_Z13cross2_kernelIdiEviPT_PKS0_S3_T0_S4_S4_,@function
_Z13cross2_kernelIdiEviPT_PKS0_S3_T0_S4_S4_: ; @_Z13cross2_kernelIdiEviPT_PKS0_S3_T0_S4_S4_
; %bb.0:
	s_load_dword s0, s[4:5], 0x3c
	s_load_dword s14, s[4:5], 0x0
	s_add_u32 s8, s4, 48
	s_addc_u32 s9, s5, 0
	s_waitcnt lgkmcnt(0)
	s_and_b32 s10, s0, 0xffff
	s_mul_i32 s6, s6, s10
	v_add_u32_e32 v2, s6, v0
	v_cmp_gt_i32_e32 vcc, s14, v2
	s_and_saveexec_b64 s[0:1], vcc
	s_cbranch_execz .LBB4_3
; %bb.1:
	s_load_dwordx4 s[16:19], s[4:5], 0x20
	s_load_dwordx4 s[0:3], s[4:5], 0x8
	s_load_dwordx2 s[6:7], s[4:5], 0x18
	s_load_dword s15, s[8:9], 0x0
	v_lshl_add_u32 v0, v2, 1, v2
	s_waitcnt lgkmcnt(0)
	s_ashr_i32 s5, s17, 31
	s_mov_b32 s4, s17
	s_ashr_i32 s19, s18, 31
	s_ashr_i32 s17, s16, 31
	s_mul_i32 s15, s15, s10
	s_lshl_b64 s[4:5], s[4:5], 3
	s_lshl_b64 s[8:9], s[18:19], 3
	s_lshl_b64 s[10:11], s[16:17], 3
	s_mul_i32 s16, s15, 3
	s_mov_b64 s[12:13], 0
	v_mov_b32_e32 v3, s1
	v_mov_b32_e32 v4, s3
	;; [unrolled: 1-line block ×6, first 2 shown]
.LBB4_2:                                ; =>This Inner Loop Header: Depth=1
	v_ashrrev_i32_e32 v1, 31, v0
	v_lshlrev_b64 v[9:10], 3, v[0:1]
	v_add_u32_e32 v2, s15, v2
	v_add_co_u32_e32 v11, vcc, s2, v9
	v_addc_co_u32_e32 v12, vcc, v4, v10, vcc
	v_add_co_u32_e32 v13, vcc, s6, v9
	v_addc_co_u32_e32 v14, vcc, v5, v10, vcc
	;; [unrolled: 2-line block ×3, first 2 shown]
	global_load_dwordx2 v[19:20], v[15:16], off
	global_load_dwordx2 v[21:22], v[13:14], off
	v_add_co_u32_e32 v17, vcc, s4, v15
	v_addc_co_u32_e32 v18, vcc, v16, v6, vcc
	v_add_co_u32_e32 v13, vcc, s8, v13
	v_addc_co_u32_e32 v14, vcc, v14, v7, vcc
	v_add_co_u32_e32 v15, vcc, s8, v13
	global_load_dwordx2 v[11:12], v[11:12], off
	v_addc_co_u32_e32 v16, vcc, v14, v7, vcc
	global_load_dwordx2 v[23:24], v[13:14], off
	global_load_dwordx2 v[25:26], v[17:18], off
	;; [unrolled: 1-line block ×3, first 2 shown]
	v_cmp_le_i32_e32 vcc, s14, v2
	s_or_b64 s[12:13], vcc, s[12:13]
	v_add_co_u32_e32 v9, vcc, s0, v9
	v_addc_co_u32_e32 v10, vcc, v3, v10, vcc
	v_add_co_u32_e32 v17, vcc, s10, v9
	v_addc_co_u32_e32 v18, vcc, v10, v8, vcc
	v_add_u32_e32 v0, s16, v0
	s_waitcnt vmcnt(4)
	v_mul_f64 v[13:14], v[19:20], v[21:22]
	s_waitcnt vmcnt(2)
	v_fma_f64 v[13:14], v[11:12], v[23:24], -v[13:14]
	s_waitcnt vmcnt(1)
	v_mul_f64 v[15:16], v[25:26], v[23:24]
	s_waitcnt vmcnt(0)
	v_mul_f64 v[11:12], v[11:12], v[27:28]
	v_fma_f64 v[15:16], v[19:20], v[27:28], -v[15:16]
	v_fma_f64 v[11:12], v[25:26], v[21:22], -v[11:12]
	v_add_co_u32_e32 v19, vcc, s10, v17
	v_addc_co_u32_e32 v20, vcc, v18, v8, vcc
	global_store_dwordx2 v[9:10], v[15:16], off
	global_store_dwordx2 v[17:18], v[11:12], off
	;; [unrolled: 1-line block ×3, first 2 shown]
	s_andn2_b64 exec, exec, s[12:13]
	s_cbranch_execnz .LBB4_2
.LBB4_3:
	s_endpgm
	.section	.rodata,"a",@progbits
	.p2align	6, 0x0
	.amdhsa_kernel _Z13cross2_kernelIdiEviPT_PKS0_S3_T0_S4_S4_
		.amdhsa_group_segment_fixed_size 0
		.amdhsa_private_segment_fixed_size 0
		.amdhsa_kernarg_size 304
		.amdhsa_user_sgpr_count 6
		.amdhsa_user_sgpr_private_segment_buffer 1
		.amdhsa_user_sgpr_dispatch_ptr 0
		.amdhsa_user_sgpr_queue_ptr 0
		.amdhsa_user_sgpr_kernarg_segment_ptr 1
		.amdhsa_user_sgpr_dispatch_id 0
		.amdhsa_user_sgpr_flat_scratch_init 0
		.amdhsa_user_sgpr_private_segment_size 0
		.amdhsa_uses_dynamic_stack 0
		.amdhsa_system_sgpr_private_segment_wavefront_offset 0
		.amdhsa_system_sgpr_workgroup_id_x 1
		.amdhsa_system_sgpr_workgroup_id_y 0
		.amdhsa_system_sgpr_workgroup_id_z 0
		.amdhsa_system_sgpr_workgroup_info 0
		.amdhsa_system_vgpr_workitem_id 0
		.amdhsa_next_free_vgpr 29
		.amdhsa_next_free_sgpr 20
		.amdhsa_reserve_vcc 1
		.amdhsa_reserve_flat_scratch 0
		.amdhsa_float_round_mode_32 0
		.amdhsa_float_round_mode_16_64 0
		.amdhsa_float_denorm_mode_32 3
		.amdhsa_float_denorm_mode_16_64 3
		.amdhsa_dx10_clamp 1
		.amdhsa_ieee_mode 1
		.amdhsa_fp16_overflow 0
		.amdhsa_exception_fp_ieee_invalid_op 0
		.amdhsa_exception_fp_denorm_src 0
		.amdhsa_exception_fp_ieee_div_zero 0
		.amdhsa_exception_fp_ieee_overflow 0
		.amdhsa_exception_fp_ieee_underflow 0
		.amdhsa_exception_fp_ieee_inexact 0
		.amdhsa_exception_int_div_zero 0
	.end_amdhsa_kernel
	.section	.text._Z13cross2_kernelIdiEviPT_PKS0_S3_T0_S4_S4_,"axG",@progbits,_Z13cross2_kernelIdiEviPT_PKS0_S3_T0_S4_S4_,comdat
.Lfunc_end4:
	.size	_Z13cross2_kernelIdiEviPT_PKS0_S3_T0_S4_S4_, .Lfunc_end4-_Z13cross2_kernelIdiEviPT_PKS0_S3_T0_S4_S4_
                                        ; -- End function
	.set _Z13cross2_kernelIdiEviPT_PKS0_S3_T0_S4_S4_.num_vgpr, 29
	.set _Z13cross2_kernelIdiEviPT_PKS0_S3_T0_S4_S4_.num_agpr, 0
	.set _Z13cross2_kernelIdiEviPT_PKS0_S3_T0_S4_S4_.numbered_sgpr, 20
	.set _Z13cross2_kernelIdiEviPT_PKS0_S3_T0_S4_S4_.num_named_barrier, 0
	.set _Z13cross2_kernelIdiEviPT_PKS0_S3_T0_S4_S4_.private_seg_size, 0
	.set _Z13cross2_kernelIdiEviPT_PKS0_S3_T0_S4_S4_.uses_vcc, 1
	.set _Z13cross2_kernelIdiEviPT_PKS0_S3_T0_S4_S4_.uses_flat_scratch, 0
	.set _Z13cross2_kernelIdiEviPT_PKS0_S3_T0_S4_S4_.has_dyn_sized_stack, 0
	.set _Z13cross2_kernelIdiEviPT_PKS0_S3_T0_S4_S4_.has_recursion, 0
	.set _Z13cross2_kernelIdiEviPT_PKS0_S3_T0_S4_S4_.has_indirect_call, 0
	.section	.AMDGPU.csdata,"",@progbits
; Kernel info:
; codeLenInByte = 412
; TotalNumSgprs: 24
; NumVgprs: 29
; ScratchSize: 0
; MemoryBound: 0
; FloatMode: 240
; IeeeMode: 1
; LDSByteSize: 0 bytes/workgroup (compile time only)
; SGPRBlocks: 2
; VGPRBlocks: 7
; NumSGPRsForWavesPerEU: 24
; NumVGPRsForWavesPerEU: 29
; Occupancy: 8
; WaveLimiterHint : 0
; COMPUTE_PGM_RSRC2:SCRATCH_EN: 0
; COMPUTE_PGM_RSRC2:USER_SGPR: 6
; COMPUTE_PGM_RSRC2:TRAP_HANDLER: 0
; COMPUTE_PGM_RSRC2:TGID_X_EN: 1
; COMPUTE_PGM_RSRC2:TGID_Y_EN: 0
; COMPUTE_PGM_RSRC2:TGID_Z_EN: 0
; COMPUTE_PGM_RSRC2:TIDIG_COMP_CNT: 0
	.section	.text._Z13cross3_kernelIdEviPT_PKS0_S3_,"axG",@progbits,_Z13cross3_kernelIdEviPT_PKS0_S3_,comdat
	.protected	_Z13cross3_kernelIdEviPT_PKS0_S3_ ; -- Begin function _Z13cross3_kernelIdEviPT_PKS0_S3_
	.globl	_Z13cross3_kernelIdEviPT_PKS0_S3_
	.p2align	8
	.type	_Z13cross3_kernelIdEviPT_PKS0_S3_,@function
_Z13cross3_kernelIdEviPT_PKS0_S3_:      ; @_Z13cross3_kernelIdEviPT_PKS0_S3_
; %bb.0:
	s_load_dword s0, s[4:5], 0x2c
	s_load_dword s10, s[4:5], 0x0
	s_add_u32 s8, s4, 32
	s_addc_u32 s9, s5, 0
	s_waitcnt lgkmcnt(0)
	s_and_b32 s11, s0, 0xffff
	s_mul_i32 s6, s6, s11
	v_add_u32_e32 v2, s6, v0
	v_cmp_gt_i32_e32 vcc, s10, v2
	s_and_saveexec_b64 s[0:1], vcc
	s_cbranch_execz .LBB5_3
; %bb.1:
	s_load_dword s12, s[8:9], 0x0
	s_load_dwordx4 s[0:3], s[4:5], 0x8
	s_load_dwordx2 s[6:7], s[4:5], 0x18
	v_lshl_add_u32 v0, v2, 1, v2
	s_mov_b64 s[4:5], 0
	s_waitcnt lgkmcnt(0)
	s_mul_i32 s8, s12, s11
	s_mul_i32 s9, s8, 3
	v_mov_b32_e32 v3, s1
	v_mov_b32_e32 v4, s3
	;; [unrolled: 1-line block ×3, first 2 shown]
.LBB5_2:                                ; =>This Inner Loop Header: Depth=1
	v_ashrrev_i32_e32 v1, 31, v0
	v_lshlrev_b64 v[6:7], 3, v[0:1]
	v_add_u32_e32 v2, s8, v2
	v_add_co_u32_e32 v18, vcc, s0, v6
	v_addc_co_u32_e32 v19, vcc, v3, v7, vcc
	v_add_co_u32_e32 v14, vcc, s2, v6
	v_addc_co_u32_e32 v15, vcc, v4, v7, vcc
	;; [unrolled: 2-line block ×3, first 2 shown]
	global_load_dwordx2 v[20:21], v[14:15], off offset:16
	global_load_dwordx4 v[6:9], v[14:15], off
	global_load_dwordx2 v[22:23], v[16:17], off offset:16
	global_load_dwordx4 v[10:13], v[16:17], off
	v_cmp_le_i32_e32 vcc, s10, v2
	v_add_u32_e32 v0, s9, v0
	s_or_b64 s[4:5], vcc, s[4:5]
	s_waitcnt vmcnt(1)
	v_mul_f64 v[16:17], v[6:7], v[22:23]
	s_waitcnt vmcnt(0)
	v_mul_f64 v[14:15], v[20:21], v[12:13]
	v_fma_f64 v[16:17], v[20:21], v[10:11], -v[16:17]
	v_fma_f64 v[14:15], v[8:9], v[22:23], -v[14:15]
	v_mul_f64 v[8:9], v[8:9], v[10:11]
	v_fma_f64 v[6:7], v[6:7], v[12:13], -v[8:9]
	global_store_dwordx4 v[18:19], v[14:17], off
	global_store_dwordx2 v[18:19], v[6:7], off offset:16
	s_andn2_b64 exec, exec, s[4:5]
	s_cbranch_execnz .LBB5_2
.LBB5_3:
	s_endpgm
	.section	.rodata,"a",@progbits
	.p2align	6, 0x0
	.amdhsa_kernel _Z13cross3_kernelIdEviPT_PKS0_S3_
		.amdhsa_group_segment_fixed_size 0
		.amdhsa_private_segment_fixed_size 0
		.amdhsa_kernarg_size 288
		.amdhsa_user_sgpr_count 6
		.amdhsa_user_sgpr_private_segment_buffer 1
		.amdhsa_user_sgpr_dispatch_ptr 0
		.amdhsa_user_sgpr_queue_ptr 0
		.amdhsa_user_sgpr_kernarg_segment_ptr 1
		.amdhsa_user_sgpr_dispatch_id 0
		.amdhsa_user_sgpr_flat_scratch_init 0
		.amdhsa_user_sgpr_private_segment_size 0
		.amdhsa_uses_dynamic_stack 0
		.amdhsa_system_sgpr_private_segment_wavefront_offset 0
		.amdhsa_system_sgpr_workgroup_id_x 1
		.amdhsa_system_sgpr_workgroup_id_y 0
		.amdhsa_system_sgpr_workgroup_id_z 0
		.amdhsa_system_sgpr_workgroup_info 0
		.amdhsa_system_vgpr_workitem_id 0
		.amdhsa_next_free_vgpr 24
		.amdhsa_next_free_sgpr 13
		.amdhsa_reserve_vcc 1
		.amdhsa_reserve_flat_scratch 0
		.amdhsa_float_round_mode_32 0
		.amdhsa_float_round_mode_16_64 0
		.amdhsa_float_denorm_mode_32 3
		.amdhsa_float_denorm_mode_16_64 3
		.amdhsa_dx10_clamp 1
		.amdhsa_ieee_mode 1
		.amdhsa_fp16_overflow 0
		.amdhsa_exception_fp_ieee_invalid_op 0
		.amdhsa_exception_fp_denorm_src 0
		.amdhsa_exception_fp_ieee_div_zero 0
		.amdhsa_exception_fp_ieee_overflow 0
		.amdhsa_exception_fp_ieee_underflow 0
		.amdhsa_exception_fp_ieee_inexact 0
		.amdhsa_exception_int_div_zero 0
	.end_amdhsa_kernel
	.section	.text._Z13cross3_kernelIdEviPT_PKS0_S3_,"axG",@progbits,_Z13cross3_kernelIdEviPT_PKS0_S3_,comdat
.Lfunc_end5:
	.size	_Z13cross3_kernelIdEviPT_PKS0_S3_, .Lfunc_end5-_Z13cross3_kernelIdEviPT_PKS0_S3_
                                        ; -- End function
	.set _Z13cross3_kernelIdEviPT_PKS0_S3_.num_vgpr, 24
	.set _Z13cross3_kernelIdEviPT_PKS0_S3_.num_agpr, 0
	.set _Z13cross3_kernelIdEviPT_PKS0_S3_.numbered_sgpr, 13
	.set _Z13cross3_kernelIdEviPT_PKS0_S3_.num_named_barrier, 0
	.set _Z13cross3_kernelIdEviPT_PKS0_S3_.private_seg_size, 0
	.set _Z13cross3_kernelIdEviPT_PKS0_S3_.uses_vcc, 1
	.set _Z13cross3_kernelIdEviPT_PKS0_S3_.uses_flat_scratch, 0
	.set _Z13cross3_kernelIdEviPT_PKS0_S3_.has_dyn_sized_stack, 0
	.set _Z13cross3_kernelIdEviPT_PKS0_S3_.has_recursion, 0
	.set _Z13cross3_kernelIdEviPT_PKS0_S3_.has_indirect_call, 0
	.section	.AMDGPU.csdata,"",@progbits
; Kernel info:
; codeLenInByte = 284
; TotalNumSgprs: 17
; NumVgprs: 24
; ScratchSize: 0
; MemoryBound: 0
; FloatMode: 240
; IeeeMode: 1
; LDSByteSize: 0 bytes/workgroup (compile time only)
; SGPRBlocks: 2
; VGPRBlocks: 5
; NumSGPRsForWavesPerEU: 17
; NumVGPRsForWavesPerEU: 24
; Occupancy: 10
; WaveLimiterHint : 0
; COMPUTE_PGM_RSRC2:SCRATCH_EN: 0
; COMPUTE_PGM_RSRC2:USER_SGPR: 6
; COMPUTE_PGM_RSRC2:TRAP_HANDLER: 0
; COMPUTE_PGM_RSRC2:TGID_X_EN: 1
; COMPUTE_PGM_RSRC2:TGID_Y_EN: 0
; COMPUTE_PGM_RSRC2:TGID_Z_EN: 0
; COMPUTE_PGM_RSRC2:TIDIG_COMP_CNT: 0
	.section	.AMDGPU.gpr_maximums,"",@progbits
	.set amdgpu.max_num_vgpr, 0
	.set amdgpu.max_num_agpr, 0
	.set amdgpu.max_num_sgpr, 0
	.section	.AMDGPU.csdata,"",@progbits
	.type	__hip_cuid_3945ae593f2dacea,@object ; @__hip_cuid_3945ae593f2dacea
	.section	.bss,"aw",@nobits
	.globl	__hip_cuid_3945ae593f2dacea
__hip_cuid_3945ae593f2dacea:
	.byte	0                               ; 0x0
	.size	__hip_cuid_3945ae593f2dacea, 1

	.ident	"AMD clang version 22.0.0git (https://github.com/RadeonOpenCompute/llvm-project roc-7.2.4 26084 f58b06dce1f9c15707c5f808fd002e18c2accf7e)"
	.section	".note.GNU-stack","",@progbits
	.addrsig
	.addrsig_sym __hip_cuid_3945ae593f2dacea
	.amdgpu_metadata
---
amdhsa.kernels:
  - .args:
      - .offset:         0
        .size:           4
        .value_kind:     by_value
      - .address_space:  global
        .offset:         8
        .size:           8
        .value_kind:     global_buffer
      - .address_space:  global
        .offset:         16
        .size:           8
        .value_kind:     global_buffer
      - .address_space:  global
        .offset:         24
        .size:           8
        .value_kind:     global_buffer
      - .offset:         32
        .size:           4
        .value_kind:     by_value
      - .offset:         36
        .size:           4
        .value_kind:     by_value
      - .offset:         40
        .size:           4
        .value_kind:     by_value
      - .offset:         48
        .size:           4
        .value_kind:     hidden_block_count_x
      - .offset:         52
        .size:           4
        .value_kind:     hidden_block_count_y
      - .offset:         56
        .size:           4
        .value_kind:     hidden_block_count_z
      - .offset:         60
        .size:           2
        .value_kind:     hidden_group_size_x
      - .offset:         62
        .size:           2
        .value_kind:     hidden_group_size_y
      - .offset:         64
        .size:           2
        .value_kind:     hidden_group_size_z
      - .offset:         66
        .size:           2
        .value_kind:     hidden_remainder_x
      - .offset:         68
        .size:           2
        .value_kind:     hidden_remainder_y
      - .offset:         70
        .size:           2
        .value_kind:     hidden_remainder_z
      - .offset:         88
        .size:           8
        .value_kind:     hidden_global_offset_x
      - .offset:         96
        .size:           8
        .value_kind:     hidden_global_offset_y
      - .offset:         104
        .size:           8
        .value_kind:     hidden_global_offset_z
      - .offset:         112
        .size:           2
        .value_kind:     hidden_grid_dims
    .group_segment_fixed_size: 0
    .kernarg_segment_align: 8
    .kernarg_segment_size: 304
    .language:       OpenCL C
    .language_version:
      - 2
      - 0
    .max_flat_workgroup_size: 1024
    .name:           _Z12cross_kernelIfiEviPT_PKS0_S3_T0_S4_S4_
    .private_segment_fixed_size: 0
    .sgpr_count:     28
    .sgpr_spill_count: 0
    .symbol:         _Z12cross_kernelIfiEviPT_PKS0_S3_T0_S4_S4_.kd
    .uniform_work_group_size: 1
    .uses_dynamic_stack: false
    .vgpr_count:     24
    .vgpr_spill_count: 0
    .wavefront_size: 64
  - .args:
      - .offset:         0
        .size:           4
        .value_kind:     by_value
      - .address_space:  global
        .offset:         8
        .size:           8
        .value_kind:     global_buffer
      - .address_space:  global
        .offset:         16
        .size:           8
        .value_kind:     global_buffer
      - .address_space:  global
        .offset:         24
        .size:           8
        .value_kind:     global_buffer
      - .offset:         32
        .size:           4
        .value_kind:     by_value
      - .offset:         36
        .size:           4
        .value_kind:     by_value
      - .offset:         40
        .size:           4
        .value_kind:     by_value
      - .offset:         48
        .size:           4
        .value_kind:     hidden_block_count_x
      - .offset:         52
        .size:           4
        .value_kind:     hidden_block_count_y
      - .offset:         56
        .size:           4
        .value_kind:     hidden_block_count_z
      - .offset:         60
        .size:           2
        .value_kind:     hidden_group_size_x
      - .offset:         62
        .size:           2
        .value_kind:     hidden_group_size_y
      - .offset:         64
        .size:           2
        .value_kind:     hidden_group_size_z
      - .offset:         66
        .size:           2
        .value_kind:     hidden_remainder_x
      - .offset:         68
        .size:           2
        .value_kind:     hidden_remainder_y
      - .offset:         70
        .size:           2
        .value_kind:     hidden_remainder_z
      - .offset:         88
        .size:           8
        .value_kind:     hidden_global_offset_x
      - .offset:         96
        .size:           8
        .value_kind:     hidden_global_offset_y
      - .offset:         104
        .size:           8
        .value_kind:     hidden_global_offset_z
      - .offset:         112
        .size:           2
        .value_kind:     hidden_grid_dims
    .group_segment_fixed_size: 0
    .kernarg_segment_align: 8
    .kernarg_segment_size: 304
    .language:       OpenCL C
    .language_version:
      - 2
      - 0
    .max_flat_workgroup_size: 1024
    .name:           _Z13cross2_kernelIfiEviPT_PKS0_S3_T0_S4_S4_
    .private_segment_fixed_size: 0
    .sgpr_count:     24
    .sgpr_spill_count: 0
    .symbol:         _Z13cross2_kernelIfiEviPT_PKS0_S3_T0_S4_S4_.kd
    .uniform_work_group_size: 1
    .uses_dynamic_stack: false
    .vgpr_count:     20
    .vgpr_spill_count: 0
    .wavefront_size: 64
  - .args:
      - .offset:         0
        .size:           4
        .value_kind:     by_value
      - .address_space:  global
        .offset:         8
        .size:           8
        .value_kind:     global_buffer
      - .address_space:  global
        .offset:         16
        .size:           8
        .value_kind:     global_buffer
      - .address_space:  global
        .offset:         24
        .size:           8
        .value_kind:     global_buffer
      - .offset:         32
        .size:           4
        .value_kind:     hidden_block_count_x
      - .offset:         36
        .size:           4
        .value_kind:     hidden_block_count_y
      - .offset:         40
        .size:           4
        .value_kind:     hidden_block_count_z
      - .offset:         44
        .size:           2
        .value_kind:     hidden_group_size_x
      - .offset:         46
        .size:           2
        .value_kind:     hidden_group_size_y
      - .offset:         48
        .size:           2
        .value_kind:     hidden_group_size_z
      - .offset:         50
        .size:           2
        .value_kind:     hidden_remainder_x
      - .offset:         52
        .size:           2
        .value_kind:     hidden_remainder_y
      - .offset:         54
        .size:           2
        .value_kind:     hidden_remainder_z
      - .offset:         72
        .size:           8
        .value_kind:     hidden_global_offset_x
      - .offset:         80
        .size:           8
        .value_kind:     hidden_global_offset_y
      - .offset:         88
        .size:           8
        .value_kind:     hidden_global_offset_z
      - .offset:         96
        .size:           2
        .value_kind:     hidden_grid_dims
    .group_segment_fixed_size: 0
    .kernarg_segment_align: 8
    .kernarg_segment_size: 288
    .language:       OpenCL C
    .language_version:
      - 2
      - 0
    .max_flat_workgroup_size: 1024
    .name:           _Z13cross3_kernelIfEviPT_PKS0_S3_
    .private_segment_fixed_size: 0
    .sgpr_count:     17
    .sgpr_spill_count: 0
    .symbol:         _Z13cross3_kernelIfEviPT_PKS0_S3_.kd
    .uniform_work_group_size: 1
    .uses_dynamic_stack: false
    .vgpr_count:     18
    .vgpr_spill_count: 0
    .wavefront_size: 64
  - .args:
      - .offset:         0
        .size:           4
        .value_kind:     by_value
      - .address_space:  global
        .offset:         8
        .size:           8
        .value_kind:     global_buffer
      - .address_space:  global
        .offset:         16
        .size:           8
        .value_kind:     global_buffer
      - .address_space:  global
        .offset:         24
        .size:           8
        .value_kind:     global_buffer
      - .offset:         32
        .size:           4
        .value_kind:     by_value
      - .offset:         36
        .size:           4
        .value_kind:     by_value
      - .offset:         40
        .size:           4
        .value_kind:     by_value
      - .offset:         48
        .size:           4
        .value_kind:     hidden_block_count_x
      - .offset:         52
        .size:           4
        .value_kind:     hidden_block_count_y
      - .offset:         56
        .size:           4
        .value_kind:     hidden_block_count_z
      - .offset:         60
        .size:           2
        .value_kind:     hidden_group_size_x
      - .offset:         62
        .size:           2
        .value_kind:     hidden_group_size_y
      - .offset:         64
        .size:           2
        .value_kind:     hidden_group_size_z
      - .offset:         66
        .size:           2
        .value_kind:     hidden_remainder_x
      - .offset:         68
        .size:           2
        .value_kind:     hidden_remainder_y
      - .offset:         70
        .size:           2
        .value_kind:     hidden_remainder_z
      - .offset:         88
        .size:           8
        .value_kind:     hidden_global_offset_x
      - .offset:         96
        .size:           8
        .value_kind:     hidden_global_offset_y
      - .offset:         104
        .size:           8
        .value_kind:     hidden_global_offset_z
      - .offset:         112
        .size:           2
        .value_kind:     hidden_grid_dims
    .group_segment_fixed_size: 0
    .kernarg_segment_align: 8
    .kernarg_segment_size: 304
    .language:       OpenCL C
    .language_version:
      - 2
      - 0
    .max_flat_workgroup_size: 1024
    .name:           _Z12cross_kernelIdiEviPT_PKS0_S3_T0_S4_S4_
    .private_segment_fixed_size: 0
    .sgpr_count:     28
    .sgpr_spill_count: 0
    .symbol:         _Z12cross_kernelIdiEviPT_PKS0_S3_T0_S4_S4_.kd
    .uniform_work_group_size: 1
    .uses_dynamic_stack: false
    .vgpr_count:     28
    .vgpr_spill_count: 0
    .wavefront_size: 64
  - .args:
      - .offset:         0
        .size:           4
        .value_kind:     by_value
      - .address_space:  global
        .offset:         8
        .size:           8
        .value_kind:     global_buffer
      - .address_space:  global
        .offset:         16
        .size:           8
        .value_kind:     global_buffer
      - .address_space:  global
        .offset:         24
        .size:           8
        .value_kind:     global_buffer
      - .offset:         32
        .size:           4
        .value_kind:     by_value
      - .offset:         36
        .size:           4
        .value_kind:     by_value
      - .offset:         40
        .size:           4
        .value_kind:     by_value
      - .offset:         48
        .size:           4
        .value_kind:     hidden_block_count_x
      - .offset:         52
        .size:           4
        .value_kind:     hidden_block_count_y
      - .offset:         56
        .size:           4
        .value_kind:     hidden_block_count_z
      - .offset:         60
        .size:           2
        .value_kind:     hidden_group_size_x
      - .offset:         62
        .size:           2
        .value_kind:     hidden_group_size_y
      - .offset:         64
        .size:           2
        .value_kind:     hidden_group_size_z
      - .offset:         66
        .size:           2
        .value_kind:     hidden_remainder_x
      - .offset:         68
        .size:           2
        .value_kind:     hidden_remainder_y
      - .offset:         70
        .size:           2
        .value_kind:     hidden_remainder_z
      - .offset:         88
        .size:           8
        .value_kind:     hidden_global_offset_x
      - .offset:         96
        .size:           8
        .value_kind:     hidden_global_offset_y
      - .offset:         104
        .size:           8
        .value_kind:     hidden_global_offset_z
      - .offset:         112
        .size:           2
        .value_kind:     hidden_grid_dims
    .group_segment_fixed_size: 0
    .kernarg_segment_align: 8
    .kernarg_segment_size: 304
    .language:       OpenCL C
    .language_version:
      - 2
      - 0
    .max_flat_workgroup_size: 1024
    .name:           _Z13cross2_kernelIdiEviPT_PKS0_S3_T0_S4_S4_
    .private_segment_fixed_size: 0
    .sgpr_count:     24
    .sgpr_spill_count: 0
    .symbol:         _Z13cross2_kernelIdiEviPT_PKS0_S3_T0_S4_S4_.kd
    .uniform_work_group_size: 1
    .uses_dynamic_stack: false
    .vgpr_count:     29
    .vgpr_spill_count: 0
    .wavefront_size: 64
  - .args:
      - .offset:         0
        .size:           4
        .value_kind:     by_value
      - .address_space:  global
        .offset:         8
        .size:           8
        .value_kind:     global_buffer
      - .address_space:  global
        .offset:         16
        .size:           8
        .value_kind:     global_buffer
      - .address_space:  global
        .offset:         24
        .size:           8
        .value_kind:     global_buffer
      - .offset:         32
        .size:           4
        .value_kind:     hidden_block_count_x
      - .offset:         36
        .size:           4
        .value_kind:     hidden_block_count_y
      - .offset:         40
        .size:           4
        .value_kind:     hidden_block_count_z
      - .offset:         44
        .size:           2
        .value_kind:     hidden_group_size_x
      - .offset:         46
        .size:           2
        .value_kind:     hidden_group_size_y
      - .offset:         48
        .size:           2
        .value_kind:     hidden_group_size_z
      - .offset:         50
        .size:           2
        .value_kind:     hidden_remainder_x
      - .offset:         52
        .size:           2
        .value_kind:     hidden_remainder_y
      - .offset:         54
        .size:           2
        .value_kind:     hidden_remainder_z
      - .offset:         72
        .size:           8
        .value_kind:     hidden_global_offset_x
      - .offset:         80
        .size:           8
        .value_kind:     hidden_global_offset_y
      - .offset:         88
        .size:           8
        .value_kind:     hidden_global_offset_z
      - .offset:         96
        .size:           2
        .value_kind:     hidden_grid_dims
    .group_segment_fixed_size: 0
    .kernarg_segment_align: 8
    .kernarg_segment_size: 288
    .language:       OpenCL C
    .language_version:
      - 2
      - 0
    .max_flat_workgroup_size: 1024
    .name:           _Z13cross3_kernelIdEviPT_PKS0_S3_
    .private_segment_fixed_size: 0
    .sgpr_count:     17
    .sgpr_spill_count: 0
    .symbol:         _Z13cross3_kernelIdEviPT_PKS0_S3_.kd
    .uniform_work_group_size: 1
    .uses_dynamic_stack: false
    .vgpr_count:     24
    .vgpr_spill_count: 0
    .wavefront_size: 64
amdhsa.target:   amdgcn-amd-amdhsa--gfx906
amdhsa.version:
  - 1
  - 2
...

	.end_amdgpu_metadata
